;; amdgpu-corpus repo=ROCm/rocFFT kind=compiled arch=gfx950 opt=O3
	.text
	.amdgcn_target "amdgcn-amd-amdhsa--gfx950"
	.amdhsa_code_object_version 6
	.protected	bluestein_single_back_len32_dim1_sp_op_CI_CI ; -- Begin function bluestein_single_back_len32_dim1_sp_op_CI_CI
	.globl	bluestein_single_back_len32_dim1_sp_op_CI_CI
	.p2align	8
	.type	bluestein_single_back_len32_dim1_sp_op_CI_CI,@function
bluestein_single_back_len32_dim1_sp_op_CI_CI: ; @bluestein_single_back_len32_dim1_sp_op_CI_CI
; %bb.0:
	s_load_dwordx4 s[8:11], s[0:1], 0x28
	v_lshrrev_b32_e32 v1, 4, v0
	v_lshl_or_b32 v20, s2, 3, v1
	v_mov_b32_e32 v21, 0
	s_waitcnt lgkmcnt(0)
	v_cmp_gt_u64_e32 vcc, s[8:9], v[20:21]
	s_and_saveexec_b64 s[2:3], vcc
	s_cbranch_execz .LBB0_25
; %bb.1:
	s_load_dwordx2 s[8:9], s[0:1], 0x0
	s_load_dwordx2 s[12:13], s[0:1], 0x38
	v_and_b32_e32 v35, 15, v0
	v_lshlrev_b32_e32 v22, 5, v1
	v_cmp_lt_u32_e64 s[2:3], 3, v35
	v_cmp_gt_u32_e32 vcc, 4, v35
	v_lshlrev_b32_e32 v39, 3, v35
	v_or_b32_e32 v40, v22, v35
	v_or_b32_e32 v36, 4, v35
	v_add_lshl_u32 v21, v22, v35, 3
	v_or_b32_e32 v37, 8, v35
	v_or_b32_e32 v38, 12, v35
	;; [unrolled: 1-line block ×5, first 2 shown]
	s_and_saveexec_b64 s[14:15], vcc
	s_cbranch_execz .LBB0_3
; %bb.2:
	s_load_dwordx2 s[4:5], s[0:1], 0x18
	v_mov_b32_e32 v0, s10
	v_mov_b32_e32 v1, s11
	v_lshlrev_b32_e32 v23, 3, v40
	s_waitcnt lgkmcnt(0)
	s_load_dwordx4 s[4:7], s[4:5], 0x0
	s_waitcnt lgkmcnt(0)
	v_mad_u64_u32 v[2:3], s[10:11], s6, v20, 0
	v_mad_u64_u32 v[4:5], s[10:11], s4, v35, 0
	v_mov_b32_e32 v6, v3
	v_mov_b32_e32 v8, v5
	v_mad_u64_u32 v[6:7], s[6:7], s7, v20, v[6:7]
	v_mov_b32_e32 v3, v6
	v_mad_u64_u32 v[6:7], s[6:7], s5, v35, v[8:9]
	v_mov_b32_e32 v5, v6
	v_lshl_add_u64 v[0:1], v[2:3], 3, v[0:1]
	v_lshl_add_u64 v[2:3], v[4:5], 3, v[0:1]
	v_mad_u64_u32 v[4:5], s[6:7], s4, v36, 0
	v_mov_b32_e32 v6, v5
	v_mad_u64_u32 v[6:7], s[6:7], s5, v36, v[6:7]
	v_mov_b32_e32 v5, v6
	;; [unrolled: 2-line block ×5, first 2 shown]
	v_mad_u64_u32 v[10:11], s[6:7], s5, v38, v[10:11]
	v_lshl_add_u64 v[6:7], v[6:7], 3, v[0:1]
	v_mov_b32_e32 v9, v10
	s_lshl_b64 s[6:7], s[4:5], 7
	v_lshl_add_u64 v[4:5], v[4:5], 3, v[0:1]
	v_lshl_add_u64 v[8:9], v[8:9], 3, v[0:1]
	global_load_dwordx2 v[10:11], v[2:3], off
	global_load_dwordx2 v[12:13], v[4:5], off
	global_load_dwordx2 v[14:15], v[6:7], off
	global_load_dwordx2 v[16:17], v[8:9], off
	global_load_dwordx2 v[18:19], v39, s[8:9]
	global_load_dwordx2 v[24:25], v39, s[8:9] offset:32
	global_load_dwordx2 v[26:27], v39, s[8:9] offset:64
	;; [unrolled: 1-line block ×3, first 2 shown]
	v_lshl_add_u64 v[2:3], v[2:3], 0, s[6:7]
	v_mad_u64_u32 v[6:7], s[6:7], s4, v34, 0
	v_mov_b32_e32 v8, v7
	v_mad_u64_u32 v[8:9], s[6:7], s5, v34, v[8:9]
	v_mov_b32_e32 v7, v8
	;; [unrolled: 2-line block ×3, first 2 shown]
	v_mad_u64_u32 v[30:31], s[6:7], s5, v33, v[30:31]
	v_lshl_add_u64 v[6:7], v[6:7], 3, v[0:1]
	v_mov_b32_e32 v9, v30
	global_load_dwordx2 v[4:5], v39, s[8:9] offset:128
	v_lshl_add_u64 v[8:9], v[8:9], 3, v[0:1]
	global_load_dwordx2 v[2:3], v[2:3], off
	s_nop 0
	global_load_dwordx2 v[30:31], v[6:7], off
	global_load_dwordx2 v[42:43], v[8:9], off
	global_load_dwordx2 v[44:45], v39, s[8:9] offset:160
	v_mad_u64_u32 v[6:7], s[6:7], s4, v32, 0
	v_mov_b32_e32 v8, v7
	global_load_dwordx2 v[46:47], v39, s[8:9] offset:192
	v_mad_u64_u32 v[8:9], s[4:5], s5, v32, v[8:9]
	v_mov_b32_e32 v7, v8
	v_lshl_add_u64 v[0:1], v[6:7], 3, v[0:1]
	global_load_dwordx2 v[6:7], v39, s[8:9] offset:224
	global_load_dwordx2 v[8:9], v[0:1], off
	s_waitcnt vmcnt(11)
	v_mul_f32_e32 v0, v11, v19
	v_mul_f32_e32 v1, v10, v19
	s_waitcnt vmcnt(10)
	v_mul_f32_e32 v48, v13, v25
	v_mul_f32_e32 v19, v12, v25
	;; [unrolled: 3-line block ×3, first 2 shown]
	v_fmac_f32_e32 v0, v10, v18
	v_fma_f32 v1, v11, v18, -v1
	v_fmac_f32_e32 v48, v12, v24
	v_fma_f32 v49, v13, v24, -v19
	;; [unrolled: 2-line block ×3, first 2 shown]
	ds_write_b64 v23, v[0:1]
	ds_write2_b64 v21, v[48:49], v[50:51] offset0:4 offset1:8
	s_waitcnt vmcnt(8)
	v_mul_f32_e32 v52, v17, v29
	v_mul_f32_e32 v27, v16, v29
	v_fmac_f32_e32 v52, v16, v28
	v_fma_f32 v53, v17, v28, -v27
	s_waitcnt vmcnt(6)
	v_mul_f32_e32 v10, v3, v5
	v_mul_f32_e32 v0, v2, v5
	v_fmac_f32_e32 v10, v2, v4
	v_fma_f32 v11, v3, v4, -v0
	s_waitcnt vmcnt(3)
	v_mul_f32_e32 v0, v31, v45
	v_mul_f32_e32 v1, v30, v45
	s_waitcnt vmcnt(2)
	v_mul_f32_e32 v2, v43, v47
	v_mul_f32_e32 v3, v42, v47
	v_fmac_f32_e32 v0, v30, v44
	v_fma_f32 v1, v31, v44, -v1
	v_fmac_f32_e32 v2, v42, v46
	v_fma_f32 v3, v43, v46, -v3
	ds_write2_b64 v21, v[0:1], v[2:3] offset0:20 offset1:24
	s_waitcnt vmcnt(0)
	v_mul_f32_e32 v0, v9, v7
	v_mul_f32_e32 v1, v8, v7
	v_fmac_f32_e32 v0, v8, v6
	v_fma_f32 v1, v9, v6, -v1
	ds_write2_b64 v21, v[52:53], v[10:11] offset0:12 offset1:16
	ds_write_b64 v21, v[0:1] offset:224
.LBB0_3:
	s_or_b64 exec, exec, s[14:15]
	s_waitcnt lgkmcnt(0)
	s_barrier
	s_waitcnt lgkmcnt(0)
                                        ; implicit-def: $vgpr16
                                        ; implicit-def: $vgpr4
                                        ; implicit-def: $vgpr18
                                        ; implicit-def: $vgpr0
                                        ; implicit-def: $vgpr12
                                        ; implicit-def: $vgpr10
	s_and_saveexec_b64 s[4:5], vcc
	s_cbranch_execz .LBB0_5
; %bb.4:
	v_lshlrev_b32_e32 v12, 3, v40
	ds_read2_b64 v[4:7], v12 offset0:16 offset1:20
	ds_read2_b64 v[0:3], v12 offset1:4
	ds_read2_b64 v[8:11], v12 offset0:8 offset1:12
	ds_read2_b64 v[12:15], v12 offset0:24 offset1:28
	s_waitcnt lgkmcnt(3)
	v_mov_b32_e32 v16, v7
	s_waitcnt lgkmcnt(2)
	v_mov_b32_e32 v18, v3
	v_mov_b32_e32 v3, v1
	v_mov_b32_e32 v7, v5
.LBB0_5:
	s_or_b64 exec, exec, s[4:5]
	s_waitcnt lgkmcnt(0)
	v_pk_add_f32 v[26:27], v[8:9], v[12:13] neg_lo:[0,1] neg_hi:[0,1]
	v_mov_b32_e32 v1, v9
	v_mov_b32_e32 v5, v13
	v_pk_add_f32 v[12:13], v[10:11], v[14:15] neg_lo:[0,1] neg_hi:[0,1]
	v_mov_b32_e32 v19, v11
	v_mov_b32_e32 v17, v15
	v_pk_add_f32 v[6:7], v[2:3], v[6:7] neg_lo:[0,1] neg_hi:[0,1]
	v_pk_add_f32 v[4:5], v[0:1], v[4:5] neg_lo:[0,1] neg_hi:[0,1]
	v_fma_f32 v1, v8, 2.0, -v26
	v_add_f32_e32 v8, v2, v2
	v_fma_f32 v2, v10, 2.0, -v12
	v_pk_add_f32 v[10:11], v[18:19], v[16:17] neg_lo:[0,1] neg_hi:[0,1]
	v_fma_f32 v3, v3, 2.0, -v7
	v_pk_add_f32 v[12:13], v[12:13], v[10:11]
	v_pk_fma_f32 v[14:15], v[18:19], 2.0, v[10:11] op_sel_hi:[1,0,1] neg_lo:[0,0,1] neg_hi:[0,0,1]
	v_fma_f32 v13, v10, 2.0, -v12
	v_mov_b32_e32 v10, v5
	v_pk_add_f32 v[42:43], v[4:5], v[10:11] neg_lo:[0,1] neg_hi:[0,1]
	v_mov_b32_e32 v10, v11
	v_pk_add_f32 v[10:11], v[6:7], v[10:11] neg_lo:[0,1] neg_hi:[0,1]
	v_fma_f32 v9, v9, 2.0, -v5
	v_fma_f32 v29, v4, 2.0, -v42
	;; [unrolled: 1-line block ×3, first 2 shown]
	s_mov_b32 s4, 0x3f3504f3
	v_mov_b32_e32 v28, v42
	v_sub_f32_e32 v17, v3, v9
	v_pk_mul_f32 v[44:45], v[10:11], s[4:5] op_sel_hi:[1,0]
	v_pk_mul_f32 v[30:31], v[12:13], s[4:5] op_sel_hi:[1,0]
	v_pk_fma_f32 v[24:25], v[10:11], s[4:5], v[42:43] op_sel_hi:[1,0,1]
	v_pk_fma_f32 v[10:11], v[10:11], s[4:5], v[28:29] op_sel_hi:[1,0,1] neg_lo:[1,0,0] neg_hi:[1,0,0]
	v_mov_b32_e32 v9, v26
	v_mov_b32_e32 v25, v11
	v_pk_add_f32 v[10:11], v[8:9], v[6:7] neg_lo:[0,1] neg_hi:[0,1]
	v_pk_add_f32 v[46:47], v[8:9], v[6:7]
	v_mov_b32_e32 v5, v30
	v_pk_add_f32 v[48:49], v[10:11], v[2:3] neg_lo:[0,1] neg_hi:[0,1]
	v_pk_add_f32 v[8:9], v[46:47], v[4:5]
	v_mov_b32_e32 v16, v15
	v_mov_b32_e32 v49, v9
	;; [unrolled: 1-line block ×6, first 2 shown]
	v_pk_add_f32 v[18:19], v[14:15], v[16:17] neg_lo:[0,1] neg_hi:[0,1]
	v_pk_fma_f32 v[4:5], v[6:7], 2.0, v[8:9] op_sel_hi:[1,0,1] neg_lo:[0,0,1] neg_hi:[0,0,1]
	v_mov_b32_e32 v0, v31
	v_pk_add_f32 v[0:1], v[4:5], v[0:1] neg_lo:[0,1] neg_hi:[0,1]
	v_mov_b32_e32 v2, v45
	v_mov_b32_e32 v6, v45
	;; [unrolled: 1-line block ×3, first 2 shown]
	v_pk_fma_f32 v[24:25], v[12:13], s[4:5], v[24:25] op_sel_hi:[1,0,1] neg_lo:[1,0,0] neg_hi:[1,0,0]
	v_mov_b32_e32 v16, v1
	v_pk_add_f32 v[26:27], v[0:1], v[2:3]
	v_pk_add_f32 v[30:31], v[0:1], v[6:7] neg_lo:[0,1] neg_hi:[0,1]
	v_mov_b32_e32 v2, v5
	v_mov_b32_e32 v1, v4
	;; [unrolled: 1-line block ×5, first 2 shown]
	s_load_dwordx2 s[6:7], s[0:1], 0x8
	v_pk_fma_f32 v[4:5], v[10:11], 2.0, v[4:5] op_sel_hi:[1,0,1] neg_lo:[0,0,1] neg_hi:[0,0,1]
	v_mov_b32_e32 v0, v29
	v_mov_b32_e32 v10, v25
	;; [unrolled: 1-line block ×3, first 2 shown]
	v_pk_fma_f32 v[14:15], v[0:1], 2.0, v[10:11] op_sel_hi:[1,0,1] neg_lo:[0,0,1] neg_hi:[0,0,1]
	v_mov_b32_e32 v0, v17
	v_mov_b32_e32 v1, v44
	v_pk_fma_f32 v[2:3], v[2:3], 2.0, v[16:17] op_sel_hi:[1,0,1] neg_lo:[0,0,1] neg_hi:[0,0,1]
	v_pk_add_f32 v[28:29], v[48:49], v[0:1]
	v_pk_add_f32 v[8:9], v[2:3], v[4:5] neg_lo:[0,1] neg_hi:[0,1]
	v_mov_b32_e32 v4, v31
	v_mov_b32_e32 v5, v28
	;; [unrolled: 1-line block ×5, first 2 shown]
	v_pk_fma_f32 v[12:13], v[2:3], 2.0, v[8:9] op_sel_hi:[1,0,1] neg_lo:[0,0,1] neg_hi:[0,0,1]
	v_pk_fma_f32 v[16:17], v[16:17], 2.0, v[4:5] op_sel_hi:[1,0,1] neg_lo:[0,0,1] neg_hi:[0,0,1]
	;; [unrolled: 1-line block ×3, first 2 shown]
	v_lshlrev_b32_e32 v24, 3, v22
	s_waitcnt lgkmcnt(0)
	s_barrier
	s_and_saveexec_b64 s[4:5], vcc
	s_cbranch_execz .LBB0_7
; %bb.6:
	v_lshl_or_b32 v0, v35, 6, v24
	ds_write_b128 v0, v[12:15]
	ds_write_b128 v0, v[16:19] offset:16
	ds_write_b128 v0, v[8:11] offset:32
	;; [unrolled: 1-line block ×3, first 2 shown]
.LBB0_7:
	s_or_b64 exec, exec, s[4:5]
	v_cmp_gt_u32_e64 s[4:5], 8, v35
	s_waitcnt lgkmcnt(0)
	s_barrier
	s_and_saveexec_b64 s[10:11], s[4:5]
	s_cbranch_execz .LBB0_9
; %bb.8:
	v_lshlrev_b32_e32 v0, 3, v40
	ds_read2_b64 v[12:15], v0 offset1:8
	ds_read2_b64 v[16:19], v0 offset0:16 offset1:24
.LBB0_9:
	s_or_b64 exec, exec, s[10:11]
	v_and_b32_e32 v0, 7, v35
	v_mad_u64_u32 v[4:5], s[6:7], v0, 24, s[6:7]
	global_load_dwordx4 v[0:3], v[4:5], off
	global_load_dwordx2 v[22:23], v[4:5], off offset:16
	s_waitcnt lgkmcnt(1)
	v_mov_b32_e32 v4, v15
	s_waitcnt lgkmcnt(0)
	v_mov_b32_e32 v10, v17
	v_mov_b32_e32 v30, v19
	v_add_f32_e32 v43, v12, v12
	v_mov_b32_e32 v42, v13
	s_waitcnt vmcnt(1)
	v_pk_mul_f32 v[44:45], v[14:15], v[0:1]
	s_nop 0
	v_mov_b32_e32 v44, v1
	v_pk_mul_f32 v[46:47], v[16:17], v[2:3]
	s_waitcnt vmcnt(0)
	v_pk_mul_f32 v[48:49], v[18:19], v[22:23]
	v_mov_b32_e32 v46, v3
	v_mov_b32_e32 v48, v23
	;; [unrolled: 1-line block ×3, first 2 shown]
	v_pk_mul_f32 v[44:45], v[14:15], v[44:45]
	v_mov_b32_e32 v52, v47
	v_mov_b32_e32 v54, v49
	v_pk_mul_f32 v[46:47], v[16:17], v[46:47]
	v_pk_mul_f32 v[48:49], v[18:19], v[48:49]
	v_pk_fma_f32 v[14:15], v[14:15], v[0:1], v[50:51] neg_lo:[0,0,1] neg_hi:[0,0,1]
	v_pk_fma_f32 v[4:5], v[4:5], v[0:1], v[44:45]
	v_pk_fma_f32 v[16:17], v[16:17], v[2:3], v[52:53] neg_lo:[0,0,1] neg_hi:[0,0,1]
	v_pk_fma_f32 v[18:19], v[18:19], v[22:23], v[54:55] neg_lo:[0,0,1] neg_hi:[0,0,1]
	v_pk_fma_f32 v[10:11], v[10:11], v[2:3], v[46:47]
	v_pk_add_f32 v[18:19], v[14:15], v[18:19] neg_lo:[0,1] neg_hi:[0,1]
	v_add_f32_e32 v5, v14, v14
	v_pk_add_f32 v[14:15], v[12:13], v[16:17] neg_lo:[0,1] neg_hi:[0,1]
	v_pk_fma_f32 v[44:45], v[30:31], v[22:23], v[48:49]
	v_mov_b32_e32 v11, v14
	v_mov_b32_e32 v45, v18
	v_pk_add_f32 v[42:43], v[42:43], v[10:11] neg_lo:[0,1] neg_hi:[0,1]
	v_pk_add_f32 v[16:17], v[4:5], v[44:45] neg_lo:[0,1] neg_hi:[0,1]
	v_mov_b32_e32 v15, v43
	v_fma_f32 v12, v4, 2.0, -v16
	v_pk_add_f32 v[4:5], v[14:15], v[16:17] neg_lo:[0,1] neg_hi:[0,1]
	v_add_f32_e32 v47, v14, v14
	v_fma_f32 v46, v13, 2.0, -v42
	v_pk_add_f32 v[10:11], v[42:43], v[18:19]
	v_mov_b32_e32 v13, v4
	v_mov_b32_e32 v11, v5
	v_pk_add_f32 v[16:17], v[46:47], v[12:13] neg_lo:[0,1] neg_hi:[0,1]
	v_pk_fma_f32 v[14:15], v[42:43], 2.0, v[10:11] op_sel_hi:[1,0,1] neg_lo:[0,0,1] neg_hi:[0,0,1]
	v_fma_f32 v13, v46, 2.0, -v16
	s_and_saveexec_b64 s[6:7], s[4:5]
	s_cbranch_execz .LBB0_11
; %bb.10:
	v_lshlrev_b32_e32 v11, 3, v40
	v_mov_b32_e32 v12, v15
	v_mov_b32_e32 v18, v17
	;; [unrolled: 1-line block ×3, first 2 shown]
	ds_write2_b64 v11, v[12:13], v[18:19] offset1:8
	v_mov_b32_e32 v18, v5
	v_mov_b32_e32 v19, v16
	;; [unrolled: 1-line block ×4, first 2 shown]
	ds_write2_b64 v11, v[18:19], v[42:43] offset0:16 offset1:24
.LBB0_11:
	s_or_b64 exec, exec, s[6:7]
	s_waitcnt lgkmcnt(0)
	s_barrier
	s_and_saveexec_b64 s[6:7], vcc
	s_cbranch_execz .LBB0_13
; %bb.12:
	global_load_dwordx2 v[18:19], v39, s[8:9] offset:256
	s_add_u32 s10, s8, 0x100
	s_addc_u32 s11, s9, 0
	global_load_dwordx2 v[54:55], v39, s[10:11] offset:32
	global_load_dwordx2 v[56:57], v39, s[10:11] offset:64
	;; [unrolled: 1-line block ×7, first 2 shown]
	v_lshlrev_b32_e32 v11, 3, v40
	ds_read_b64 v[42:43], v11
	s_waitcnt vmcnt(7) lgkmcnt(0)
	v_mul_f32_e32 v12, v43, v19
	v_mul_f32_e32 v45, v42, v19
	v_fma_f32 v44, v42, v18, -v12
	v_fmac_f32_e32 v45, v43, v18
	ds_write_b64 v11, v[44:45]
	ds_read2_b64 v[42:45], v21 offset0:4 offset1:8
	ds_read2_b64 v[46:49], v21 offset0:12 offset1:16
	;; [unrolled: 1-line block ×3, first 2 shown]
	ds_read_b64 v[18:19], v21 offset:224
	s_waitcnt vmcnt(6) lgkmcnt(3)
	v_mul_f32_e32 v11, v43, v55
	v_mul_f32_e32 v69, v42, v55
	s_waitcnt vmcnt(5)
	v_mul_f32_e32 v12, v45, v57
	v_mul_f32_e32 v55, v44, v57
	s_waitcnt vmcnt(4) lgkmcnt(2)
	v_mul_f32_e32 v27, v47, v59
	v_mul_f32_e32 v57, v46, v59
	s_waitcnt vmcnt(3)
	v_mul_f32_e32 v29, v49, v61
	v_mul_f32_e32 v59, v48, v61
	;; [unrolled: 6-line block ×3, first 2 shown]
	s_waitcnt vmcnt(0) lgkmcnt(0)
	v_mul_f32_e32 v70, v19, v67
	v_mul_f32_e32 v65, v18, v67
	v_fma_f32 v68, v42, v54, -v11
	v_fmac_f32_e32 v69, v43, v54
	v_fma_f32 v54, v44, v56, -v12
	v_fmac_f32_e32 v55, v45, v56
	;; [unrolled: 2-line block ×7, first 2 shown]
	ds_write2_b64 v21, v[68:69], v[54:55] offset0:4 offset1:8
	ds_write2_b64 v21, v[56:57], v[58:59] offset0:12 offset1:16
	;; [unrolled: 1-line block ×3, first 2 shown]
	ds_write_b64 v21, v[64:65] offset:224
.LBB0_13:
	s_or_b64 exec, exec, s[6:7]
	s_waitcnt lgkmcnt(0)
	s_barrier
	s_and_saveexec_b64 s[6:7], s[2:3]
	s_xor_b64 s[2:3], exec, s[6:7]
                                        ; implicit-def: $vgpr18_vgpr19
; %bb.14:
	v_mov_b32_e32 v19, v31
; %bb.15:
	s_andn2_saveexec_b64 s[2:3], s[2:3]
	s_cbranch_execz .LBB0_17
; %bb.16:
	v_lshlrev_b32_e32 v16, 3, v40
	ds_read2_b64 v[4:7], v16 offset0:24 offset1:28
	ds_read2_b64 v[8:11], v16 offset0:16 offset1:20
	ds_read2_b64 v[12:15], v16 offset1:4
	ds_read2_b64 v[42:45], v16 offset0:8 offset1:12
	s_waitcnt lgkmcnt(3)
	v_mov_b32_e32 v28, v5
	s_waitcnt lgkmcnt(2)
	v_mov_b32_e32 v26, v11
	v_mov_b32_e32 v19, v4
	;; [unrolled: 1-line block ×3, first 2 shown]
	s_waitcnt lgkmcnt(0)
	v_mov_b32_e32 v4, v44
	v_mov_b32_e32 v5, v42
	;; [unrolled: 1-line block ×7, first 2 shown]
.LBB0_17:
	s_or_b64 exec, exec, s[2:3]
	v_mov_b32_e32 v12, v15
	v_pk_add_f32 v[30:31], v[12:13], v[8:9] neg_lo:[0,1] neg_hi:[0,1]
	v_mov_b32_e32 v8, v5
	v_mov_b32_e32 v9, v16
	;; [unrolled: 1-line block ×9, first 2 shown]
	v_pk_add_f32 v[18:19], v[8:9], v[18:19] neg_lo:[0,1] neg_hi:[0,1]
	v_pk_add_f32 v[14:15], v[16:17], v[14:15] neg_lo:[0,1] neg_hi:[0,1]
	v_pk_add_f32 v[6:7], v[4:5], v[6:7] neg_lo:[0,1] neg_hi:[0,1]
	v_pk_fma_f32 v[10:11], v[12:13], 2.0, v[30:31] op_sel_hi:[1,0,1] neg_lo:[0,0,1] neg_hi:[0,0,1]
	v_pk_fma_f32 v[8:9], v[8:9], 2.0, v[18:19] op_sel_hi:[1,0,1] neg_lo:[0,0,1] neg_hi:[0,0,1]
	;; [unrolled: 1-line block ×4, first 2 shown]
	v_pk_add_f32 v[8:9], v[10:11], v[8:9] neg_lo:[0,1] neg_hi:[0,1]
	v_pk_add_f32 v[26:27], v[12:13], v[4:5] neg_lo:[0,1] neg_hi:[0,1]
	v_pk_fma_f32 v[10:11], v[10:11], 2.0, v[8:9] op_sel_hi:[1,0,1] neg_lo:[0,0,1] neg_hi:[0,0,1]
	v_pk_fma_f32 v[4:5], v[12:13], 2.0, v[26:27] op_sel_hi:[1,0,1] neg_lo:[0,0,1] neg_hi:[0,0,1]
	v_pk_add_f32 v[12:13], v[8:9], v[26:27] op_sel:[0,1] op_sel_hi:[1,0]
	v_pk_add_f32 v[16:17], v[10:11], v[4:5] neg_lo:[0,1] neg_hi:[0,1]
	s_mov_b32 s2, 0x3f3504f3
	v_pk_fma_f32 v[4:5], v[10:11], 2.0, v[16:17] op_sel_hi:[1,0,1] neg_lo:[0,0,1] neg_hi:[0,0,1]
	v_pk_add_f32 v[10:11], v[8:9], v[26:27] op_sel:[0,1] op_sel_hi:[1,0] neg_lo:[0,1] neg_hi:[0,1]
	v_pk_add_f32 v[26:27], v[14:15], v[6:7] op_sel:[0,1] op_sel_hi:[1,0]
	v_mov_b32_e32 v13, v11
	v_pk_add_f32 v[10:11], v[30:31], v[18:19] op_sel:[0,1] op_sel_hi:[1,0]
	v_pk_add_f32 v[18:19], v[30:31], v[18:19] op_sel:[0,1] op_sel_hi:[1,0] neg_lo:[0,1] neg_hi:[0,1]
	v_pk_add_f32 v[6:7], v[14:15], v[6:7] op_sel:[0,1] op_sel_hi:[1,0] neg_lo:[0,1] neg_hi:[0,1]
	v_mov_b32_e32 v11, v19
	v_mov_b32_e32 v27, v7
	v_pk_fma_f32 v[6:7], v[30:31], 2.0, v[10:11] op_sel_hi:[1,0,1] neg_lo:[0,0,1] neg_hi:[0,0,1]
	v_pk_fma_f32 v[14:15], v[14:15], 2.0, v[26:27] op_sel_hi:[1,0,1] neg_lo:[0,0,1] neg_hi:[0,0,1]
	;; [unrolled: 1-line block ×3, first 2 shown]
	v_pk_mul_f32 v[28:29], v[14:15], s[2:3] op_sel_hi:[1,0]
	v_pk_fma_f32 v[14:15], v[14:15], s[2:3], v[6:7] op_sel_hi:[1,0,1] neg_lo:[1,0,0] neg_hi:[1,0,0]
	s_nop 0
	v_pk_add_f32 v[18:19], v[14:15], v[28:29] op_sel:[0,1] op_sel_hi:[1,0]
	v_pk_add_f32 v[14:15], v[14:15], v[28:29] op_sel:[0,1] op_sel_hi:[1,0] neg_lo:[0,1] neg_hi:[0,1]
	v_pk_mul_f32 v[28:29], v[26:27], s[2:3] op_sel_hi:[1,0]
	v_pk_fma_f32 v[26:27], v[26:27], s[2:3], v[10:11] op_sel_hi:[1,0,1]
	v_mov_b32_e32 v19, v15
	v_pk_add_f32 v[14:15], v[26:27], v[28:29] op_sel:[0,1] op_sel_hi:[1,0]
	v_pk_add_f32 v[26:27], v[26:27], v[28:29] op_sel:[0,1] op_sel_hi:[1,0] neg_lo:[0,1] neg_hi:[0,1]
	v_pk_fma_f32 v[6:7], v[6:7], 2.0, v[18:19] op_sel_hi:[1,0,1] neg_lo:[0,0,1] neg_hi:[0,0,1]
	v_mov_b32_e32 v15, v27
	v_pk_fma_f32 v[10:11], v[10:11], 2.0, v[14:15] op_sel_hi:[1,0,1] neg_lo:[0,0,1] neg_hi:[0,0,1]
	s_barrier
	s_and_saveexec_b64 s[2:3], vcc
	s_cbranch_execz .LBB0_19
; %bb.18:
	v_lshl_or_b32 v24, v35, 6, v24
	ds_write_b128 v24, v[4:7]
	ds_write_b128 v24, v[8:11] offset:16
	ds_write_b128 v24, v[16:19] offset:32
	ds_write_b128 v24, v[12:15] offset:48
.LBB0_19:
	s_or_b64 exec, exec, s[2:3]
	s_waitcnt lgkmcnt(0)
	s_barrier
	s_and_saveexec_b64 s[2:3], s[4:5]
	s_cbranch_execz .LBB0_21
; %bb.20:
	v_lshlrev_b32_e32 v8, 3, v40
	ds_read2_b64 v[4:7], v8 offset1:8
	ds_read2_b64 v[8:11], v8 offset0:16 offset1:24
.LBB0_21:
	s_or_b64 exec, exec, s[2:3]
	s_and_saveexec_b64 s[2:3], s[4:5]
	s_cbranch_execz .LBB0_23
; %bb.22:
	s_waitcnt lgkmcnt(0)
	v_pk_mul_f32 v[12:13], v[2:3], v[8:9] op_sel:[0,1]
	v_pk_mul_f32 v[14:15], v[0:1], v[6:7] op_sel:[0,1]
	;; [unrolled: 1-line block ×3, first 2 shown]
	v_pk_fma_f32 v[18:19], v[2:3], v[8:9], v[12:13] op_sel:[0,0,1] op_sel_hi:[1,1,0]
	v_pk_fma_f32 v[2:3], v[2:3], v[8:9], v[12:13] op_sel:[0,0,1] op_sel_hi:[1,0,0] neg_lo:[1,0,0] neg_hi:[1,0,0]
	v_pk_fma_f32 v[8:9], v[0:1], v[6:7], v[14:15] op_sel:[0,0,1] op_sel_hi:[1,1,0]
	v_pk_fma_f32 v[0:1], v[0:1], v[6:7], v[14:15] op_sel:[0,0,1] op_sel_hi:[1,0,0] neg_lo:[1,0,0] neg_hi:[1,0,0]
	v_pk_fma_f32 v[6:7], v[22:23], v[10:11], v[16:17] op_sel:[0,0,1] op_sel_hi:[1,0,0] neg_lo:[1,0,0] neg_hi:[1,0,0]
	v_mov_b32_e32 v9, v1
	v_pk_fma_f32 v[0:1], v[22:23], v[10:11], v[16:17] op_sel:[0,0,1] op_sel_hi:[1,1,0]
	v_mov_b32_e32 v19, v3
	v_mov_b32_e32 v1, v7
	v_pk_add_f32 v[2:3], v[4:5], v[18:19] neg_lo:[0,1] neg_hi:[0,1]
	v_pk_add_f32 v[0:1], v[8:9], v[0:1] neg_lo:[0,1] neg_hi:[0,1]
	v_pk_fma_f32 v[4:5], v[4:5], 2.0, v[2:3] op_sel_hi:[1,0,1] neg_lo:[0,0,1] neg_hi:[0,0,1]
	v_pk_fma_f32 v[6:7], v[8:9], 2.0, v[0:1] op_sel_hi:[1,0,1] neg_lo:[0,0,1] neg_hi:[0,0,1]
	v_pk_add_f32 v[8:9], v[2:3], v[0:1] op_sel:[0,1] op_sel_hi:[1,0]
	v_pk_add_f32 v[0:1], v[2:3], v[0:1] op_sel:[0,1] op_sel_hi:[1,0] neg_lo:[0,1] neg_hi:[0,1]
	v_pk_add_f32 v[6:7], v[4:5], v[6:7] neg_lo:[0,1] neg_hi:[0,1]
	v_mov_b32_e32 v9, v1
	v_lshlrev_b32_e32 v24, 3, v40
	v_pk_fma_f32 v[4:5], v[4:5], 2.0, v[6:7] op_sel_hi:[1,0,1] neg_lo:[0,0,1] neg_hi:[0,0,1]
	v_pk_fma_f32 v[0:1], v[2:3], 2.0, v[8:9] op_sel_hi:[1,0,1] neg_lo:[0,0,1] neg_hi:[0,0,1]
	ds_write2_b64 v24, v[4:5], v[0:1] offset1:8
	ds_write2_b64 v24, v[6:7], v[8:9] offset0:16 offset1:24
.LBB0_23:
	s_or_b64 exec, exec, s[2:3]
	s_waitcnt lgkmcnt(0)
	s_barrier
	s_and_b64 exec, exec, vcc
	s_cbranch_execz .LBB0_25
; %bb.24:
	global_load_dwordx2 v[8:9], v39, s[8:9]
	global_load_dwordx2 v[10:11], v39, s[8:9] offset:32
	global_load_dwordx2 v[12:13], v39, s[8:9] offset:64
	;; [unrolled: 1-line block ×4, first 2 shown]
	ds_read2_b64 v[0:3], v21 offset0:4 offset1:8
	ds_read2_b64 v[4:7], v21 offset0:12 offset1:16
	global_load_dwordx2 v[22:23], v39, s[8:9] offset:160
	s_load_dwordx2 s[0:1], s[0:1], 0x20
	v_lshlrev_b32_e32 v28, 3, v40
	v_mov_b32_e32 v18, s12
	v_mov_b32_e32 v19, s13
	s_mov_b32 s4, 0x3d000000
	s_waitcnt lgkmcnt(0)
	s_load_dwordx4 s[0:3], s[0:1], 0x0
	global_load_dwordx2 v[24:25], v39, s[8:9] offset:192
	global_load_dwordx2 v[26:27], v39, s[8:9] offset:224
	ds_read_b64 v[28:29], v28
	s_waitcnt lgkmcnt(0)
	v_mad_u64_u32 v[30:31], s[6:7], s2, v20, 0
	v_mad_u64_u32 v[42:43], s[6:7], s0, v36, 0
	;; [unrolled: 1-line block ×3, first 2 shown]
	v_mov_b32_e32 v48, v31
	v_mad_u64_u32 v[40:41], s[6:7], s0, v35, 0
	v_mad_u64_u32 v[46:47], s[6:7], s0, v38, 0
	v_mov_b32_e32 v52, v43
	v_mov_b32_e32 v54, v45
	v_mad_u64_u32 v[48:49], s[2:3], s3, v20, v[48:49]
	v_mov_b32_e32 v50, v41
	v_mov_b32_e32 v56, v47
	v_mad_u64_u32 v[52:53], s[2:3], s1, v36, v[52:53]
	v_mad_u64_u32 v[36:37], s[2:3], s1, v37, v[54:55]
	v_mov_b32_e32 v31, v48
	v_mad_u64_u32 v[50:51], s[2:3], s1, v35, v[50:51]
	v_mad_u64_u32 v[38:39], s[2:3], s1, v38, v[56:57]
	v_mov_b32_e32 v45, v36
	v_lshl_add_u64 v[18:19], v[30:31], 3, v[18:19]
	v_mov_b32_e32 v41, v50
	v_mov_b32_e32 v47, v38
	v_lshl_add_u64 v[38:39], v[44:45], 3, v[18:19]
	v_mov_b32_e32 v43, v52
	v_lshl_add_u64 v[30:31], v[40:41], 3, v[18:19]
	v_lshl_add_u64 v[40:41], v[46:47], 3, v[18:19]
	s_lshl_b64 s[6:7], s[0:1], 7
	v_lshl_add_u64 v[36:37], v[42:43], 3, v[18:19]
	v_lshl_add_u64 v[42:43], v[30:31], 0, s[6:7]
	s_waitcnt vmcnt(7)
	v_pk_mul_f32 v[44:45], v[28:29], v[8:9] op_sel:[0,1]
	s_waitcnt vmcnt(6)
	v_pk_mul_f32 v[46:47], v[0:1], v[10:11] op_sel:[0,1]
	s_waitcnt vmcnt(5)
	v_pk_mul_f32 v[48:49], v[2:3], v[12:13] op_sel:[0,1]
	s_waitcnt vmcnt(4)
	v_pk_mul_f32 v[50:51], v[4:5], v[14:15] op_sel:[0,1]
	s_waitcnt vmcnt(3)
	v_pk_mul_f32 v[52:53], v[6:7], v[16:17] op_sel:[0,1]
	v_pk_fma_f32 v[54:55], v[8:9], v[28:29], v[44:45] op_sel:[0,0,1] op_sel_hi:[1,1,0]
	v_pk_fma_f32 v[8:9], v[8:9], v[28:29], v[44:45] op_sel:[0,0,1] op_sel_hi:[0,1,0] neg_lo:[0,0,1] neg_hi:[0,0,1]
	v_pk_fma_f32 v[28:29], v[10:11], v[0:1], v[46:47] op_sel:[0,0,1] op_sel_hi:[1,1,0]
	v_pk_fma_f32 v[0:1], v[10:11], v[0:1], v[46:47] op_sel:[0,0,1] op_sel_hi:[0,1,0] neg_lo:[0,0,1] neg_hi:[0,0,1]
	v_pk_fma_f32 v[10:11], v[12:13], v[2:3], v[48:49] op_sel:[0,0,1] op_sel_hi:[1,1,0]
	v_pk_fma_f32 v[2:3], v[12:13], v[2:3], v[48:49] op_sel:[0,0,1] op_sel_hi:[0,1,0] neg_lo:[0,0,1] neg_hi:[0,0,1]
	v_pk_fma_f32 v[12:13], v[14:15], v[4:5], v[50:51] op_sel:[0,0,1] op_sel_hi:[1,1,0]
	v_pk_fma_f32 v[4:5], v[14:15], v[4:5], v[50:51] op_sel:[0,0,1] op_sel_hi:[0,1,0] neg_lo:[0,0,1] neg_hi:[0,0,1]
	v_pk_fma_f32 v[14:15], v[16:17], v[6:7], v[52:53] op_sel:[0,0,1] op_sel_hi:[1,1,0]
	v_pk_fma_f32 v[6:7], v[16:17], v[6:7], v[52:53] op_sel:[0,0,1] op_sel_hi:[0,1,0] neg_lo:[0,0,1] neg_hi:[0,0,1]
	v_mov_b32_e32 v55, v9
	v_mov_b32_e32 v29, v1
	;; [unrolled: 1-line block ×5, first 2 shown]
	v_pk_mul_f32 v[0:1], v[54:55], s[4:5] op_sel_hi:[1,0]
	v_pk_mul_f32 v[2:3], v[28:29], s[4:5] op_sel_hi:[1,0]
	;; [unrolled: 1-line block ×5, first 2 shown]
	global_store_dwordx2 v[30:31], v[0:1], off
	global_store_dwordx2 v[36:37], v[2:3], off
	;; [unrolled: 1-line block ×5, first 2 shown]
	ds_read2_b64 v[0:3], v21 offset0:20 offset1:24
	v_mad_u64_u32 v[4:5], s[2:3], s0, v34, 0
	v_mov_b32_e32 v6, v5
	v_mad_u64_u32 v[6:7], s[2:3], s1, v34, v[6:7]
	v_mov_b32_e32 v5, v6
	s_waitcnt vmcnt(7) lgkmcnt(0)
	v_pk_mul_f32 v[6:7], v[0:1], v[22:23] op_sel:[0,1]
	v_lshl_add_u64 v[4:5], v[4:5], 3, v[18:19]
	v_pk_fma_f32 v[8:9], v[22:23], v[0:1], v[6:7] op_sel:[0,0,1] op_sel_hi:[1,1,0]
	v_pk_fma_f32 v[0:1], v[22:23], v[0:1], v[6:7] op_sel:[0,0,1] op_sel_hi:[0,1,0] neg_lo:[0,0,1] neg_hi:[0,0,1]
	v_mov_b32_e32 v9, v1
	v_pk_mul_f32 v[0:1], v[8:9], s[4:5] op_sel_hi:[1,0]
	global_store_dwordx2 v[4:5], v[0:1], off
	v_mad_u64_u32 v[0:1], s[2:3], s0, v33, 0
	v_mov_b32_e32 v4, v1
	v_mad_u64_u32 v[4:5], s[2:3], s1, v33, v[4:5]
	v_mov_b32_e32 v1, v4
	s_waitcnt vmcnt(7)
	v_pk_mul_f32 v[4:5], v[2:3], v[24:25] op_sel:[0,1]
	v_lshl_add_u64 v[0:1], v[0:1], 3, v[18:19]
	v_pk_fma_f32 v[6:7], v[24:25], v[2:3], v[4:5] op_sel:[0,0,1] op_sel_hi:[1,1,0]
	v_pk_fma_f32 v[2:3], v[24:25], v[2:3], v[4:5] op_sel:[0,0,1] op_sel_hi:[0,1,0] neg_lo:[0,0,1] neg_hi:[0,0,1]
	v_mov_b32_e32 v7, v3
	ds_read_b64 v[4:5], v21 offset:224
	v_pk_mul_f32 v[2:3], v[6:7], s[4:5] op_sel_hi:[1,0]
	global_store_dwordx2 v[0:1], v[2:3], off
	v_mad_u64_u32 v[0:1], s[2:3], s0, v32, 0
	v_mov_b32_e32 v2, v1
	v_mad_u64_u32 v[2:3], s[0:1], s1, v32, v[2:3]
	v_mov_b32_e32 v1, v2
	s_waitcnt vmcnt(7) lgkmcnt(0)
	v_pk_mul_f32 v[2:3], v[4:5], v[26:27] op_sel:[0,1]
	v_lshl_add_u64 v[0:1], v[0:1], 3, v[18:19]
	v_pk_fma_f32 v[6:7], v[26:27], v[4:5], v[2:3] op_sel:[0,0,1] op_sel_hi:[1,1,0]
	v_pk_fma_f32 v[2:3], v[26:27], v[4:5], v[2:3] op_sel:[0,0,1] op_sel_hi:[0,1,0] neg_lo:[0,0,1] neg_hi:[0,0,1]
	v_mov_b32_e32 v7, v3
	v_pk_mul_f32 v[2:3], v[6:7], s[4:5] op_sel_hi:[1,0]
	global_store_dwordx2 v[0:1], v[2:3], off
.LBB0_25:
	s_endpgm
	.section	.rodata,"a",@progbits
	.p2align	6, 0x0
	.amdhsa_kernel bluestein_single_back_len32_dim1_sp_op_CI_CI
		.amdhsa_group_segment_fixed_size 2048
		.amdhsa_private_segment_fixed_size 0
		.amdhsa_kernarg_size 104
		.amdhsa_user_sgpr_count 2
		.amdhsa_user_sgpr_dispatch_ptr 0
		.amdhsa_user_sgpr_queue_ptr 0
		.amdhsa_user_sgpr_kernarg_segment_ptr 1
		.amdhsa_user_sgpr_dispatch_id 0
		.amdhsa_user_sgpr_kernarg_preload_length 0
		.amdhsa_user_sgpr_kernarg_preload_offset 0
		.amdhsa_user_sgpr_private_segment_size 0
		.amdhsa_uses_dynamic_stack 0
		.amdhsa_enable_private_segment 0
		.amdhsa_system_sgpr_workgroup_id_x 1
		.amdhsa_system_sgpr_workgroup_id_y 0
		.amdhsa_system_sgpr_workgroup_id_z 0
		.amdhsa_system_sgpr_workgroup_info 0
		.amdhsa_system_vgpr_workitem_id 0
		.amdhsa_next_free_vgpr 71
		.amdhsa_next_free_sgpr 16
		.amdhsa_accum_offset 72
		.amdhsa_reserve_vcc 1
		.amdhsa_float_round_mode_32 0
		.amdhsa_float_round_mode_16_64 0
		.amdhsa_float_denorm_mode_32 3
		.amdhsa_float_denorm_mode_16_64 3
		.amdhsa_dx10_clamp 1
		.amdhsa_ieee_mode 1
		.amdhsa_fp16_overflow 0
		.amdhsa_tg_split 0
		.amdhsa_exception_fp_ieee_invalid_op 0
		.amdhsa_exception_fp_denorm_src 0
		.amdhsa_exception_fp_ieee_div_zero 0
		.amdhsa_exception_fp_ieee_overflow 0
		.amdhsa_exception_fp_ieee_underflow 0
		.amdhsa_exception_fp_ieee_inexact 0
		.amdhsa_exception_int_div_zero 0
	.end_amdhsa_kernel
	.text
.Lfunc_end0:
	.size	bluestein_single_back_len32_dim1_sp_op_CI_CI, .Lfunc_end0-bluestein_single_back_len32_dim1_sp_op_CI_CI
                                        ; -- End function
	.section	.AMDGPU.csdata,"",@progbits
; Kernel info:
; codeLenInByte = 3776
; NumSgprs: 22
; NumVgprs: 71
; NumAgprs: 0
; TotalNumVgprs: 71
; ScratchSize: 0
; MemoryBound: 0
; FloatMode: 240
; IeeeMode: 1
; LDSByteSize: 2048 bytes/workgroup (compile time only)
; SGPRBlocks: 2
; VGPRBlocks: 8
; NumSGPRsForWavesPerEU: 22
; NumVGPRsForWavesPerEU: 71
; AccumOffset: 72
; Occupancy: 7
; WaveLimiterHint : 1
; COMPUTE_PGM_RSRC2:SCRATCH_EN: 0
; COMPUTE_PGM_RSRC2:USER_SGPR: 2
; COMPUTE_PGM_RSRC2:TRAP_HANDLER: 0
; COMPUTE_PGM_RSRC2:TGID_X_EN: 1
; COMPUTE_PGM_RSRC2:TGID_Y_EN: 0
; COMPUTE_PGM_RSRC2:TGID_Z_EN: 0
; COMPUTE_PGM_RSRC2:TIDIG_COMP_CNT: 0
; COMPUTE_PGM_RSRC3_GFX90A:ACCUM_OFFSET: 17
; COMPUTE_PGM_RSRC3_GFX90A:TG_SPLIT: 0
	.text
	.p2alignl 6, 3212836864
	.fill 256, 4, 3212836864
	.type	__hip_cuid_555800ef04cddd32,@object ; @__hip_cuid_555800ef04cddd32
	.section	.bss,"aw",@nobits
	.globl	__hip_cuid_555800ef04cddd32
__hip_cuid_555800ef04cddd32:
	.byte	0                               ; 0x0
	.size	__hip_cuid_555800ef04cddd32, 1

	.ident	"AMD clang version 19.0.0git (https://github.com/RadeonOpenCompute/llvm-project roc-6.4.0 25133 c7fe45cf4b819c5991fe208aaa96edf142730f1d)"
	.section	".note.GNU-stack","",@progbits
	.addrsig
	.addrsig_sym __hip_cuid_555800ef04cddd32
	.amdgpu_metadata
---
amdhsa.kernels:
  - .agpr_count:     0
    .args:
      - .actual_access:  read_only
        .address_space:  global
        .offset:         0
        .size:           8
        .value_kind:     global_buffer
      - .actual_access:  read_only
        .address_space:  global
        .offset:         8
        .size:           8
        .value_kind:     global_buffer
      - .actual_access:  read_only
        .address_space:  global
        .offset:         16
        .size:           8
        .value_kind:     global_buffer
      - .actual_access:  read_only
        .address_space:  global
        .offset:         24
        .size:           8
        .value_kind:     global_buffer
      - .actual_access:  read_only
        .address_space:  global
        .offset:         32
        .size:           8
        .value_kind:     global_buffer
      - .offset:         40
        .size:           8
        .value_kind:     by_value
      - .address_space:  global
        .offset:         48
        .size:           8
        .value_kind:     global_buffer
      - .address_space:  global
        .offset:         56
        .size:           8
        .value_kind:     global_buffer
      - .address_space:  global
        .offset:         64
        .size:           8
        .value_kind:     global_buffer
      - .address_space:  global
        .offset:         72
        .size:           8
        .value_kind:     global_buffer
      - .offset:         80
        .size:           4
        .value_kind:     by_value
      - .address_space:  global
        .offset:         88
        .size:           8
        .value_kind:     global_buffer
      - .address_space:  global
        .offset:         96
        .size:           8
        .value_kind:     global_buffer
    .group_segment_fixed_size: 2048
    .kernarg_segment_align: 8
    .kernarg_segment_size: 104
    .language:       OpenCL C
    .language_version:
      - 2
      - 0
    .max_flat_workgroup_size: 128
    .name:           bluestein_single_back_len32_dim1_sp_op_CI_CI
    .private_segment_fixed_size: 0
    .sgpr_count:     22
    .sgpr_spill_count: 0
    .symbol:         bluestein_single_back_len32_dim1_sp_op_CI_CI.kd
    .uniform_work_group_size: 1
    .uses_dynamic_stack: false
    .vgpr_count:     71
    .vgpr_spill_count: 0
    .wavefront_size: 64
amdhsa.target:   amdgcn-amd-amdhsa--gfx950
amdhsa.version:
  - 1
  - 2
...

	.end_amdgpu_metadata
